;; amdgpu-corpus repo=ROCm/rocFFT kind=compiled arch=gfx950 opt=O3
	.text
	.amdgcn_target "amdgcn-amd-amdhsa--gfx950"
	.amdhsa_code_object_version 6
	.protected	fft_rtc_fwd_len1350_factors_5_10_3_3_3_wgs_135_tpt_135_halfLds_sp_ip_CI_unitstride_sbrr_dirReg ; -- Begin function fft_rtc_fwd_len1350_factors_5_10_3_3_3_wgs_135_tpt_135_halfLds_sp_ip_CI_unitstride_sbrr_dirReg
	.globl	fft_rtc_fwd_len1350_factors_5_10_3_3_3_wgs_135_tpt_135_halfLds_sp_ip_CI_unitstride_sbrr_dirReg
	.p2align	8
	.type	fft_rtc_fwd_len1350_factors_5_10_3_3_3_wgs_135_tpt_135_halfLds_sp_ip_CI_unitstride_sbrr_dirReg,@function
fft_rtc_fwd_len1350_factors_5_10_3_3_3_wgs_135_tpt_135_halfLds_sp_ip_CI_unitstride_sbrr_dirReg: ; @fft_rtc_fwd_len1350_factors_5_10_3_3_3_wgs_135_tpt_135_halfLds_sp_ip_CI_unitstride_sbrr_dirReg
; %bb.0:
	s_load_dwordx2 s[4:5], s[0:1], 0x50
	s_load_dwordx4 s[8:11], s[0:1], 0x0
	s_load_dwordx2 s[6:7], s[0:1], 0x18
	v_mul_u32_u24_e32 v1, 0x1e6, v0
	v_add_u32_sdwa v6, s2, v1 dst_sel:DWORD dst_unused:UNUSED_PAD src0_sel:DWORD src1_sel:WORD_1
	v_mov_b32_e32 v4, 0
	s_waitcnt lgkmcnt(0)
	v_cmp_lt_u64_e64 s[2:3], s[10:11], 2
	v_mov_b32_e32 v7, v4
	s_and_b64 vcc, exec, s[2:3]
	v_mov_b64_e32 v[2:3], 0
	s_cbranch_vccnz .LBB0_8
; %bb.1:
	s_load_dwordx2 s[2:3], s[0:1], 0x10
	s_add_u32 s12, s6, 8
	s_addc_u32 s13, s7, 0
	s_mov_b64 s[14:15], 1
	v_mov_b64_e32 v[2:3], 0
	s_waitcnt lgkmcnt(0)
	s_add_u32 s16, s2, 8
	s_addc_u32 s17, s3, 0
.LBB0_2:                                ; =>This Inner Loop Header: Depth=1
	s_load_dwordx2 s[18:19], s[16:17], 0x0
                                        ; implicit-def: $vgpr8_vgpr9
	s_waitcnt lgkmcnt(0)
	v_or_b32_e32 v5, s19, v7
	v_cmp_ne_u64_e32 vcc, 0, v[4:5]
	s_and_saveexec_b64 s[2:3], vcc
	s_xor_b64 s[20:21], exec, s[2:3]
	s_cbranch_execz .LBB0_4
; %bb.3:                                ;   in Loop: Header=BB0_2 Depth=1
	v_cvt_f32_u32_e32 v1, s18
	v_cvt_f32_u32_e32 v5, s19
	s_sub_u32 s2, 0, s18
	s_subb_u32 s3, 0, s19
	v_fmac_f32_e32 v1, 0x4f800000, v5
	v_rcp_f32_e32 v1, v1
	s_nop 0
	v_mul_f32_e32 v1, 0x5f7ffffc, v1
	v_mul_f32_e32 v5, 0x2f800000, v1
	v_trunc_f32_e32 v5, v5
	v_fmac_f32_e32 v1, 0xcf800000, v5
	v_cvt_u32_f32_e32 v5, v5
	v_cvt_u32_f32_e32 v1, v1
	v_mul_lo_u32 v8, s2, v5
	v_mul_hi_u32 v10, s2, v1
	v_mul_lo_u32 v9, s3, v1
	v_add_u32_e32 v10, v10, v8
	v_mul_lo_u32 v12, s2, v1
	v_add_u32_e32 v13, v10, v9
	v_mul_hi_u32 v8, v1, v12
	v_mul_hi_u32 v11, v1, v13
	v_mul_lo_u32 v10, v1, v13
	v_mov_b32_e32 v9, v4
	v_lshl_add_u64 v[8:9], v[8:9], 0, v[10:11]
	v_mul_hi_u32 v11, v5, v12
	v_mul_lo_u32 v12, v5, v12
	v_add_co_u32_e32 v8, vcc, v8, v12
	v_mul_hi_u32 v10, v5, v13
	s_nop 0
	v_addc_co_u32_e32 v8, vcc, v9, v11, vcc
	v_mov_b32_e32 v9, v4
	s_nop 0
	v_addc_co_u32_e32 v11, vcc, 0, v10, vcc
	v_mul_lo_u32 v10, v5, v13
	v_lshl_add_u64 v[8:9], v[8:9], 0, v[10:11]
	v_add_co_u32_e32 v1, vcc, v1, v8
	v_mul_lo_u32 v10, s2, v1
	s_nop 0
	v_addc_co_u32_e32 v5, vcc, v5, v9, vcc
	v_mul_lo_u32 v8, s2, v5
	v_mul_hi_u32 v9, s2, v1
	v_add_u32_e32 v8, v9, v8
	v_mul_lo_u32 v9, s3, v1
	v_add_u32_e32 v12, v8, v9
	v_mul_hi_u32 v14, v5, v10
	v_mul_lo_u32 v15, v5, v10
	v_mul_hi_u32 v9, v1, v12
	v_mul_lo_u32 v8, v1, v12
	v_mul_hi_u32 v10, v1, v10
	v_mov_b32_e32 v11, v4
	v_lshl_add_u64 v[8:9], v[10:11], 0, v[8:9]
	v_add_co_u32_e32 v8, vcc, v8, v15
	v_mul_hi_u32 v13, v5, v12
	s_nop 0
	v_addc_co_u32_e32 v8, vcc, v9, v14, vcc
	v_mul_lo_u32 v10, v5, v12
	s_nop 0
	v_addc_co_u32_e32 v11, vcc, 0, v13, vcc
	v_mov_b32_e32 v9, v4
	v_lshl_add_u64 v[8:9], v[8:9], 0, v[10:11]
	v_add_co_u32_e32 v1, vcc, v1, v8
	v_mul_hi_u32 v10, v6, v1
	s_nop 0
	v_addc_co_u32_e32 v5, vcc, v5, v9, vcc
	v_mad_u64_u32 v[8:9], s[2:3], v6, v5, 0
	v_mov_b32_e32 v11, v4
	v_lshl_add_u64 v[8:9], v[10:11], 0, v[8:9]
	v_mad_u64_u32 v[12:13], s[2:3], v7, v1, 0
	v_add_co_u32_e32 v1, vcc, v8, v12
	v_mad_u64_u32 v[10:11], s[2:3], v7, v5, 0
	s_nop 0
	v_addc_co_u32_e32 v8, vcc, v9, v13, vcc
	v_mov_b32_e32 v9, v4
	s_nop 0
	v_addc_co_u32_e32 v11, vcc, 0, v11, vcc
	v_lshl_add_u64 v[8:9], v[8:9], 0, v[10:11]
	v_mul_lo_u32 v1, s19, v8
	v_mul_lo_u32 v5, s18, v9
	v_mad_u64_u32 v[10:11], s[2:3], s18, v8, 0
	v_add3_u32 v1, v11, v5, v1
	v_sub_u32_e32 v5, v7, v1
	v_mov_b32_e32 v11, s19
	v_sub_co_u32_e32 v14, vcc, v6, v10
	v_lshl_add_u64 v[12:13], v[8:9], 0, 1
	s_nop 0
	v_subb_co_u32_e64 v5, s[2:3], v5, v11, vcc
	v_subrev_co_u32_e64 v10, s[2:3], s18, v14
	v_subb_co_u32_e32 v1, vcc, v7, v1, vcc
	s_nop 0
	v_subbrev_co_u32_e64 v5, s[2:3], 0, v5, s[2:3]
	v_cmp_le_u32_e64 s[2:3], s19, v5
	v_cmp_le_u32_e32 vcc, s19, v1
	s_nop 0
	v_cndmask_b32_e64 v11, 0, -1, s[2:3]
	v_cmp_le_u32_e64 s[2:3], s18, v10
	s_nop 1
	v_cndmask_b32_e64 v10, 0, -1, s[2:3]
	v_cmp_eq_u32_e64 s[2:3], s19, v5
	s_nop 1
	v_cndmask_b32_e64 v5, v11, v10, s[2:3]
	v_lshl_add_u64 v[10:11], v[8:9], 0, 2
	v_cmp_ne_u32_e64 s[2:3], 0, v5
	s_nop 1
	v_cndmask_b32_e64 v5, v13, v11, s[2:3]
	v_cndmask_b32_e64 v11, 0, -1, vcc
	v_cmp_le_u32_e32 vcc, s18, v14
	s_nop 1
	v_cndmask_b32_e64 v13, 0, -1, vcc
	v_cmp_eq_u32_e32 vcc, s19, v1
	s_nop 1
	v_cndmask_b32_e32 v1, v11, v13, vcc
	v_cmp_ne_u32_e32 vcc, 0, v1
	v_cndmask_b32_e64 v1, v12, v10, s[2:3]
	s_nop 0
	v_cndmask_b32_e32 v9, v9, v5, vcc
	v_cndmask_b32_e32 v8, v8, v1, vcc
.LBB0_4:                                ;   in Loop: Header=BB0_2 Depth=1
	s_andn2_saveexec_b64 s[2:3], s[20:21]
	s_cbranch_execz .LBB0_6
; %bb.5:                                ;   in Loop: Header=BB0_2 Depth=1
	v_cvt_f32_u32_e32 v1, s18
	s_sub_i32 s20, 0, s18
	v_rcp_iflag_f32_e32 v1, v1
	s_nop 0
	v_mul_f32_e32 v1, 0x4f7ffffe, v1
	v_cvt_u32_f32_e32 v1, v1
	v_mul_lo_u32 v5, s20, v1
	v_mul_hi_u32 v5, v1, v5
	v_add_u32_e32 v1, v1, v5
	v_mul_hi_u32 v1, v6, v1
	v_mul_lo_u32 v5, v1, s18
	v_sub_u32_e32 v5, v6, v5
	v_add_u32_e32 v8, 1, v1
	v_subrev_u32_e32 v9, s18, v5
	v_cmp_le_u32_e32 vcc, s18, v5
	s_nop 1
	v_cndmask_b32_e32 v5, v5, v9, vcc
	v_cndmask_b32_e32 v1, v1, v8, vcc
	v_add_u32_e32 v8, 1, v1
	v_cmp_le_u32_e32 vcc, s18, v5
	v_mov_b32_e32 v9, v4
	s_nop 0
	v_cndmask_b32_e32 v8, v1, v8, vcc
.LBB0_6:                                ;   in Loop: Header=BB0_2 Depth=1
	s_or_b64 exec, exec, s[2:3]
	v_mad_u64_u32 v[10:11], s[2:3], v8, s18, 0
	s_load_dwordx2 s[2:3], s[12:13], 0x0
	v_mul_lo_u32 v1, v9, s18
	v_mul_lo_u32 v5, v8, s19
	v_add3_u32 v1, v11, v5, v1
	v_sub_co_u32_e32 v5, vcc, v6, v10
	s_add_u32 s14, s14, 1
	s_nop 0
	v_subb_co_u32_e32 v1, vcc, v7, v1, vcc
	s_addc_u32 s15, s15, 0
	s_waitcnt lgkmcnt(0)
	v_mul_lo_u32 v1, s2, v1
	v_mul_lo_u32 v6, s3, v5
	v_mad_u64_u32 v[2:3], s[2:3], s2, v5, v[2:3]
	s_add_u32 s12, s12, 8
	v_add3_u32 v3, v6, v3, v1
	s_addc_u32 s13, s13, 0
	v_mov_b64_e32 v[6:7], s[10:11]
	s_add_u32 s16, s16, 8
	v_cmp_ge_u64_e32 vcc, s[14:15], v[6:7]
	s_addc_u32 s17, s17, 0
	s_cbranch_vccnz .LBB0_9
; %bb.7:                                ;   in Loop: Header=BB0_2 Depth=1
	v_mov_b64_e32 v[6:7], v[8:9]
	s_branch .LBB0_2
.LBB0_8:
	v_mov_b64_e32 v[8:9], v[6:7]
.LBB0_9:
	s_lshl_b64 s[2:3], s[10:11], 3
	s_add_u32 s2, s6, s2
	s_addc_u32 s3, s7, s3
	s_load_dwordx2 s[6:7], s[2:3], 0x0
	s_load_dwordx2 s[10:11], s[0:1], 0x20
	s_mov_b32 s2, 0x1e573ad
                                        ; implicit-def: $vgpr14
                                        ; implicit-def: $vgpr18
                                        ; implicit-def: $vgpr22
                                        ; implicit-def: $vgpr24
                                        ; implicit-def: $vgpr10
                                        ; implicit-def: $vgpr16
                                        ; implicit-def: $vgpr6
                                        ; implicit-def: $vgpr12
                                        ; implicit-def: $vgpr26
                                        ; implicit-def: $vgpr20
	s_waitcnt lgkmcnt(0)
	v_mul_lo_u32 v1, s6, v9
	v_mul_lo_u32 v4, s7, v8
	v_mad_u64_u32 v[2:3], s[0:1], s6, v8, v[2:3]
	v_add3_u32 v3, v4, v3, v1
	v_mul_hi_u32 v1, v0, s2
	v_mul_u32_u24_e32 v1, 0x87, v1
	v_cmp_gt_u64_e64 s[0:1], s[10:11], v[8:9]
	v_sub_u32_e32 v0, v0, v1
	v_lshl_add_u64 v[2:3], v[2:3], 3, s[4:5]
                                        ; implicit-def: $vgpr8
                                        ; implicit-def: $vgpr4
	s_and_saveexec_b64 s[2:3], s[0:1]
	s_cbranch_execz .LBB0_11
; %bb.10:
	v_mov_b32_e32 v1, 0
	v_lshl_add_u64 v[6:7], v[0:1], 3, v[2:3]
	v_add_co_u32_e32 v8, vcc, 0x1000, v6
	global_load_dwordx2 v[24:25], v[6:7], off
	global_load_dwordx2 v[28:29], v[6:7], off offset:2160
	v_addc_co_u32_e32 v9, vcc, 0, v7, vcc
	v_add_co_u32_e32 v10, vcc, 0x2000, v6
	s_waitcnt vmcnt(1)
	v_mov_b32_e32 v16, v25
	v_addc_co_u32_e32 v11, vcc, 0, v7, vcc
	global_load_dwordx2 v[30:31], v[6:7], off offset:3240
	global_load_dwordx2 v[18:19], v[6:7], off offset:1080
	;; [unrolled: 1-line block ×8, first 2 shown]
	s_waitcnt vmcnt(8)
	v_mov_b32_e32 v10, v29
	s_waitcnt vmcnt(7)
	v_mov_b32_e32 v6, v31
	;; [unrolled: 2-line block ×7, first 2 shown]
	v_mov_b32_e32 v27, v28
	v_mov_b32_e32 v21, v30
.LBB0_11:
	s_or_b64 exec, exec, s[2:3]
	s_waitcnt vmcnt(1)
	v_add_f32_e32 v1, v22, v12
	v_mov_b32_e32 v23, v12
	v_mul_f32_e32 v29, 0.5, v1
	s_mov_b32 s2, 0x3f737871
	v_add_f32_e32 v1, v26, v27
	v_pk_add_f32 v[32:33], v[22:23], v[26:27] neg_lo:[0,1] neg_hi:[0,1]
	v_pk_add_f32 v[34:35], v[10:11], v[16:17]
	v_pk_add_f32 v[36:37], v[10:11], v[16:17] neg_lo:[0,1] neg_hi:[0,1]
	s_mov_b32 s3, 0x3f167918
	v_mul_f32_e32 v25, 0.5, v1
	v_add_f32_e32 v1, v32, v33
	v_mov_b32_e32 v35, v37
	v_mov_b32_e32 v36, v27
	;; [unrolled: 1-line block ×5, first 2 shown]
	v_pk_add_f32 v[30:31], v[26:27], v[22:23] neg_lo:[0,1] neg_hi:[0,1]
	v_mul_f32_e32 v32, 0x3e9e377a, v1
	v_add_f32_e32 v1, v17, v13
	v_pk_add_f32 v[36:37], v[36:37], v[38:39] neg_lo:[0,1] neg_hi:[0,1]
	v_add_f32_e32 v23, v11, v10
	s_mov_b32 s6, s3
	s_mov_b32 s7, s2
	v_fma_f32 v15, -0.5, v1, v16
	v_pk_mul_f32 v[38:39], v[36:37], s[2:3]
	v_fmac_f32_e32 v16, -0.5, v23
	v_pk_mul_f32 v[36:37], v[36:37], s[6:7]
	v_mov_b32_e32 v44, v21
	v_add_f32_e32 v23, v37, v16
	v_sub_f32_e32 v16, v16, v37
	s_waitcnt vmcnt(0)
	v_mov_b32_e32 v45, v4
	v_mov_b32_e32 v46, v20
	;; [unrolled: 1-line block ×3, first 2 shown]
	v_sub_f32_e32 v40, v23, v36
	v_add_f32_e32 v41, v36, v16
	v_add_f32_e32 v16, v9, v5
	v_pk_add_f32 v[44:45], v[44:45], v[46:47] neg_lo:[0,1] neg_hi:[0,1]
	v_add_f32_e32 v23, v7, v6
	v_sub_f32_e32 v1, v15, v38
	v_pk_add_f32 v[36:37], v[6:7], v[8:9]
	v_pk_add_f32 v[42:43], v[6:7], v[8:9] neg_lo:[0,1] neg_hi:[0,1]
	v_fma_f32 v16, -0.5, v16, v8
	v_fmac_f32_e32 v8, -0.5, v23
	v_pk_mul_f32 v[46:47], v[44:45], s[6:7]
	v_sub_f32_e32 v33, v1, v39
	v_add_f32_e32 v23, v47, v8
	v_sub_f32_e32 v8, v8, v47
	v_mov_b32_e32 v1, v10
	v_sub_f32_e32 v48, v23, v46
	v_add_f32_e32 v49, v46, v8
	v_pk_add_f32 v[46:47], v[0:1], v[12:13] neg_lo:[0,1] neg_hi:[0,1]
	v_add_f32_e32 v1, v38, v15
	v_sub_f32_e32 v52, v13, v17
	v_add_f32_e32 v56, v39, v1
	v_mov_b32_e32 v38, v13
	v_mov_b32_e32 v39, v17
	v_add_f32_e32 v54, v30, v31
	v_mov_b32_e32 v30, v27
	v_mul_f32_e32 v31, 0x3f737871, v52
	v_pk_add_f32 v[38:39], v[38:39], v[10:11] neg_lo:[0,1] neg_hi:[0,1]
	v_mov_b32_e32 v28, v27
	v_add_f32_e32 v1, v39, v38
	v_mov_b32_e32 v37, v43
	v_pk_add_f32 v[38:39], v[24:25], v[30:31] op_sel_hi:[1,0]
	v_pk_add_f32 v[28:29], v[24:25], v[28:29] op_sel_hi:[0,1] neg_lo:[0,1] neg_hi:[0,1]
	v_mov_b32_e32 v42, v10
	v_mov_b32_e32 v43, v24
	;; [unrolled: 1-line block ×3, first 2 shown]
	s_mov_b32 s5, 0x3e9e377a
	v_pk_add_f32 v[24:25], v[42:43], v[24:25] neg_lo:[0,1] neg_hi:[0,1]
	s_mov_b32 s4, s3
	v_mov_b32_e32 v30, 0x3f167918
	v_pk_mul_f32 v[50:51], v[24:25], s[4:5]
	v_fmamk_f32 v42, v52, 0xbf737871, v25
	v_mov_b32_e32 v43, v50
	v_pk_add_f32 v[50:51], v[24:25], v[30:31]
	v_mul_f32_e32 v53, 0x3f167918, v52
	v_pk_add_f32 v[50:51], v[50:51], v[42:43] neg_lo:[0,1] neg_hi:[0,1]
	v_pk_fma_f32 v[42:43], v[24:25], v[30:31], v[42:43]
	v_mov_b32_e32 v39, v29
	v_mov_b32_e32 v43, v51
	v_mul_f32_e32 v51, 0x3f737871, v24
	v_mov_b32_e32 v50, v12
	v_mul_f32_e32 v55, 0x3e9e377a, v54
	v_pk_add_f32 v[38:39], v[50:51], v[38:39]
	v_mov_b32_e32 v23, v53
	v_mul_f32_e32 v8, 0x3e9e377a, v1
	v_add_f32_e32 v1, v14, v4
	v_mov_b32_e32 v15, v4
	v_mov_b32_e32 v27, v55
	v_pk_add_f32 v[22:23], v[22:23], v[38:39]
	v_mul_f32_e32 v25, 0.5, v1
	v_pk_add_f32 v[22:23], v[26:27], v[22:23]
	v_add_f32_e32 v1, v20, v21
	v_fmac_f32_e32 v29, 0xbf737871, v24
	v_pk_add_f32 v[38:39], v[14:15], v[20:21] neg_lo:[0,1] neg_hi:[0,1]
	v_mad_u32_u24 v55, v0, 20, 0
	v_pk_add_f32 v[42:43], v[32:33], v[42:43] op_sel_hi:[0,1]
	v_mul_f32_e32 v27, 0.5, v1
	v_add_f32_e32 v1, v38, v39
	v_pk_mul_f32 v[38:39], v[44:45], s[2:3]
	ds_write2_b32 v55, v22, v23 offset1:1
	v_mov_b32_e32 v22, v5
	v_mov_b32_e32 v23, v9
	v_fmac_f32_e32 v29, 0xbf167918, v52
	v_pk_add_f32 v[50:51], v[20:21], v[14:15] neg_lo:[0,1] neg_hi:[0,1]
	v_sub_f32_e32 v46, v5, v9
	v_mov_b32_e32 v10, v21
	v_add_f32_e32 v15, v38, v16
	v_pk_add_f32 v[22:23], v[22:23], v[6:7] neg_lo:[0,1] neg_hi:[0,1]
	ds_write2_b32 v55, v42, v43 offset0:2 offset1:3
	v_fmac_f32_e32 v29, 0x3e9e377a, v54
	v_mov_b32_e32 v24, v21
	v_mov_b32_e32 v42, v6
	;; [unrolled: 1-line block ×4, first 2 shown]
	v_mul_f32_e32 v31, 0x3f167918, v46
	v_sub_f32_e32 v12, v16, v38
	v_add_f32_e32 v53, v39, v15
	v_add_f32_e32 v15, v23, v22
	v_mul_f32_e32 v38, 0x3f737871, v46
	ds_write_b32 v55, v29 offset:16
	v_pk_add_f32 v[28:29], v[18:19], v[10:11] op_sel_hi:[1,0]
	v_pk_add_f32 v[24:25], v[18:19], v[24:25] op_sel_hi:[0,1] neg_lo:[0,1] neg_hi:[0,1]
	v_pk_add_f32 v[18:19], v[42:43], v[26:27] neg_lo:[0,1] neg_hi:[0,1]
	v_mul_f32_e32 v16, 0x3e9e377a, v15
	v_mov_b32_e32 v15, v31
	v_mov_b32_e32 v31, v38
	v_pk_mul_f32 v[42:43], v[18:19], s[4:5]
	v_fmamk_f32 v26, v46, 0xbf737871, v19
	v_mov_b32_e32 v27, v42
	v_pk_add_f32 v[42:43], v[18:19], v[30:31]
	v_add_f32_e32 v32, v50, v51
	v_mov_b32_e32 v29, v25
	v_pk_fma_f32 v[30:31], v[18:19], v[30:31], v[26:27]
	v_pk_add_f32 v[26:27], v[42:43], v[26:27] neg_lo:[0,1] neg_hi:[0,1]
	v_mul_f32_e32 v43, 0x3f737871, v18
	v_mov_b32_e32 v42, v4
	v_mul_f32_e32 v50, 0x3e9e377a, v32
	v_pk_add_f32 v[28:29], v[42:43], v[28:29]
	v_fmac_f32_e32 v25, 0xbf737871, v18
	v_mov_b32_e32 v21, v50
	v_pk_add_f32 v[14:15], v[14:15], v[28:29]
	v_fmac_f32_e32 v25, 0xbf167918, v46
	v_sub_f32_e32 v39, v12, v39
	v_mul_f32_e32 v12, 0x3e9e377a, v1
	v_add_u32_e32 v52, 0xa8c, v55
	v_mov_b32_e32 v31, v27
	v_pk_add_f32 v[14:15], v[20:21], v[14:15]
	v_fmac_f32_e32 v25, 0x3e9e377a, v32
	v_mov_b32_e32 v46, v13
	v_mov_b32_e32 v1, v6
	v_add_u32_e32 v54, 0xa94, v55
	v_pk_add_f32 v[26:27], v[12:13], v[30:31] op_sel_hi:[0,1]
	ds_write2_b32 v52, v14, v15 offset1:1
	ds_write2_b32 v54, v26, v27 offset1:1
	ds_write_b32 v55, v25 offset:2716
	v_pk_add_f32 v[12:13], v[46:47], v[34:35]
	v_mov_b32_e32 v25, 0x3e9e377a
	v_mov_b32_e32 v24, v17
	v_pk_add_f32 v[22:23], v[0:1], v[4:5] neg_lo:[0,1] neg_hi:[0,1]
	v_lshlrev_b32_e32 v1, 4, v0
	v_pk_add_f32 v[26:27], v[24:25], v[12:13]
	v_pk_mul_f32 v[12:13], v[12:13], s[4:5]
	v_sub_u32_e32 v1, v55, v1
	v_mov_b32_e32 v27, v13
	v_mov_b32_e32 v32, v11
	v_add_u32_e32 v30, 0x400, v1
	v_add_u32_e32 v31, 0x800, v1
	;; [unrolled: 1-line block ×4, first 2 shown]
	v_pk_add_f32 v[10:11], v[32:33], v[26:27]
	s_waitcnt lgkmcnt(0)
	s_barrier
	ds_read2_b32 v[14:15], v1 offset1:135
	ds_read2_b32 v[20:21], v30 offset0:14 offset1:149
	ds_read2_b32 v[44:45], v31 offset0:28 offset1:163
	;; [unrolled: 1-line block ×4, first 2 shown]
	s_waitcnt lgkmcnt(0)
	s_barrier
	v_add_f32_e32 v4, v13, v56
	ds_write2_b32 v55, v10, v11 offset1:1
	v_pk_add_f32 v[10:11], v[8:9], v[40:41] op_sel_hi:[0,1]
	v_mov_b32_e32 v22, v5
	ds_write2_b32 v55, v10, v11 offset0:2 offset1:3
	ds_write_b32 v55, v4 offset:16
	v_pk_add_f32 v[4:5], v[22:23], v[36:37]
	v_mov_b32_e32 v24, v9
	v_pk_add_f32 v[8:9], v[24:25], v[4:5]
	v_pk_mul_f32 v[4:5], v[4:5], s[4:5]
	v_mov_b32_e32 v38, v7
	v_mov_b32_e32 v9, v5
	v_pk_add_f32 v[6:7], v[38:39], v[8:9]
	v_add_f32_e32 v8, v5, v53
	v_pk_add_f32 v[4:5], v[16:17], v[48:49] op_sel_hi:[0,1]
	s_movk_i32 s6, 0xcd
	ds_write2_b32 v52, v6, v7 offset1:1
	ds_write2_b32 v54, v4, v5 offset1:1
	ds_write_b32 v55, v8 offset:2716
	v_mul_lo_u16_sdwa v4, v0, s6 dst_sel:DWORD dst_unused:UNUSED_PAD src0_sel:BYTE_0 src1_sel:DWORD
	v_lshrrev_b16_e32 v54, 10, v4
	v_mul_lo_u16_e32 v4, 5, v54
	v_sub_u16_e32 v55, v0, v4
	v_mov_b32_e32 v4, 9
	v_mul_u32_u24_sdwa v4, v55, v4 dst_sel:DWORD dst_unused:UNUSED_PAD src0_sel:BYTE_0 src1_sel:DWORD
	v_lshlrev_b32_e32 v6, 3, v4
	s_waitcnt lgkmcnt(0)
	s_barrier
	global_load_dwordx4 v[8:11], v6, s[8:9]
	global_load_dwordx4 v[26:29], v6, s[8:9] offset:16
	global_load_dwordx4 v[36:39], v6, s[8:9] offset:32
	;; [unrolled: 1-line block ×3, first 2 shown]
	ds_read2_b32 v[4:5], v1 offset1:135
	ds_read2_b32 v[12:13], v30 offset0:14 offset1:149
	ds_read2_b32 v[16:17], v31 offset0:28 offset1:163
	;; [unrolled: 1-line block ×3, first 2 shown]
	global_load_dwordx2 v[46:47], v6, s[8:9] offset:64
	ds_read2_b32 v[48:49], v58 offset0:56 offset1:191
	s_mov_b32 s6, s5
	s_mov_b32 s7, s3
	s_waitcnt lgkmcnt(0)
	s_barrier
	v_cmp_lt_u32_e32 vcc, 44, v0
	s_waitcnt vmcnt(4)
	v_mul_f32_e32 v6, v12, v11
	v_fma_f32 v22, v20, v10, -v6
	s_waitcnt vmcnt(3)
	v_mul_f32_e32 v6, v16, v29
	v_fma_f32 v24, v44, v28, -v6
	s_waitcnt vmcnt(2)
	v_mul_f32_e32 v6, v34, v39
	v_mul_f32_e32 v32, v20, v11
	v_fma_f32 v33, v50, v38, -v6
	v_mul_f32_e32 v11, v50, v39
	s_waitcnt vmcnt(1)
	v_mul_f32_e32 v6, v48, v43
	v_fmac_f32_e32 v11, v34, v38
	v_fma_f32 v34, v18, v42, -v6
	v_mov_b32_e32 v6, v15
	v_fmac_f32_e32 v32, v12, v10
	v_mul_f32_e32 v23, v16, v28
	v_mul_f32_e32 v25, v44, v29
	v_mov_b32_e32 v10, v5
	v_pk_mul_f32 v[28:29], v[6:7], v[8:9] op_sel_hi:[0,1]
	v_pk_fma_f32 v[6:7], v[10:11], v[8:9], v[28:29] op_sel:[0,0,1] op_sel_hi:[0,1,0]
	v_pk_fma_f32 v[8:9], v[10:11], v[8:9], v[28:29] op_sel:[0,0,1] op_sel_hi:[0,1,0] neg_lo:[1,0,0] neg_hi:[1,0,0]
	v_mov_b32_e32 v12, v21
	v_mov_b32_e32 v8, v13
	v_pk_mul_f32 v[20:21], v[12:13], v[26:27] op_sel_hi:[0,1]
	v_mul_f32_e32 v5, v18, v43
	v_sub_f32_e32 v10, v34, v33
	v_pk_fma_f32 v[28:29], v[8:9], v[26:27], v[20:21] op_sel:[0,0,1] op_sel_hi:[1,1,0]
	v_pk_fma_f32 v[12:13], v[8:9], v[26:27], v[20:21] op_sel:[0,0,1] op_sel_hi:[0,1,0] neg_lo:[1,0,0] neg_hi:[1,0,0]
	v_pk_add_f32 v[20:21], v[22:23], v[24:25] neg_lo:[0,1] neg_hi:[0,1]
	v_pk_add_f32 v[26:27], v[22:23], v[24:25]
	v_fmac_f32_e32 v5, v48, v42
	v_add_f32_e32 v7, v24, v33
	v_pk_add_f32 v[20:21], v[20:21], v[10:11]
	v_pk_add_f32 v[38:39], v[26:27], v[10:11] neg_lo:[0,1] neg_hi:[0,1]
	v_fma_f32 v7, -0.5, v7, v14
	v_sub_f32_e32 v15, v32, v5
	v_mov_b32_e32 v21, v39
	v_fmamk_f32 v16, v15, 0x3f737871, v7
	v_pk_mul_f32 v[20:21], v[20:21], s[6:7]
	v_fmac_f32_e32 v7, 0xbf737871, v15
	v_sub_f32_e32 v7, v7, v21
	v_add_f32_e32 v56, v20, v7
	v_add_f32_e32 v7, v14, v22
	;; [unrolled: 1-line block ×8, first 2 shown]
	v_fmac_f32_e32 v14, -0.5, v7
	v_sub_f32_e32 v7, v24, v22
	v_sub_f32_e32 v8, v33, v34
	v_mov_b32_e32 v10, v45
	v_add_f32_e32 v7, v7, v8
	v_mov_b32_e32 v29, v13
	v_mov_b32_e32 v8, v17
	v_pk_mul_f32 v[12:13], v[10:11], v[36:37] op_sel_hi:[0,1]
	v_pk_fma_f32 v[20:21], v[8:9], v[36:37], v[12:13] op_sel:[0,0,1] op_sel_hi:[1,1,0]
	v_pk_fma_f32 v[12:13], v[8:9], v[36:37], v[12:13] op_sel:[0,0,1] op_sel_hi:[0,1,0] neg_lo:[1,0,0] neg_hi:[1,0,0]
	v_mov_b32_e32 v10, v51
	v_mov_b32_e32 v21, v13
	;; [unrolled: 1-line block ×3, first 2 shown]
	v_pk_mul_f32 v[12:13], v[10:11], v[40:41] op_sel_hi:[0,1]
	v_fmamk_f32 v58, v39, 0xbf737871, v14
	v_fmac_f32_e32 v14, 0x3f737871, v39
	v_pk_fma_f32 v[16:17], v[8:9], v[40:41], v[12:13] op_sel:[0,0,1] op_sel_hi:[1,1,0]
	v_pk_fma_f32 v[12:13], v[8:9], v[40:41], v[12:13] op_sel:[0,0,1] op_sel_hi:[0,1,0] neg_lo:[1,0,0] neg_hi:[1,0,0]
	v_mov_b32_e32 v10, v19
	v_fmac_f32_e32 v58, 0x3f167918, v15
	v_fmac_f32_e32 v14, 0xbf167918, v15
	v_mov_b32_e32 v17, v13
	v_mov_b32_e32 v8, v49
	s_waitcnt vmcnt(0)
	v_pk_mul_f32 v[12:13], v[10:11], v[46:47] op_sel_hi:[0,1]
	v_fmac_f32_e32 v58, 0x3e9e377a, v7
	v_fmac_f32_e32 v14, 0x3e9e377a, v7
	v_mov_b32_e32 v7, v9
	v_pk_fma_f32 v[36:37], v[8:9], v[46:47], v[12:13] op_sel:[0,0,1] op_sel_hi:[1,1,0]
	v_pk_fma_f32 v[12:13], v[8:9], v[46:47], v[12:13] op_sel:[0,0,1] op_sel_hi:[0,1,0] neg_lo:[1,0,0] neg_hi:[1,0,0]
	v_mov_b32_e32 v37, v13
	v_pk_add_f32 v[12:13], v[6:7], v[28:29]
	v_pk_add_f32 v[38:39], v[28:29], v[36:37] neg_lo:[0,1] neg_hi:[0,1]
	v_pk_add_f32 v[12:13], v[12:13], v[20:21]
	v_pk_add_f32 v[52:53], v[28:29], v[36:37]
	;; [unrolled: 1-line block ×3, first 2 shown]
	v_pk_mul_f32 v[40:41], v[38:39], s[2:3] op_sel_hi:[1,0]
	v_pk_add_f32 v[18:19], v[12:13], v[36:37]
	v_pk_add_f32 v[12:13], v[20:21], v[16:17]
	v_pk_add_f32 v[44:45], v[20:21], v[16:17] neg_lo:[0,1] neg_hi:[0,1]
	v_pk_fma_f32 v[12:13], -0.5, v[12:13], v[6:7] op_sel_hi:[0,1,1]
	v_pk_add_f32 v[48:49], v[28:29], v[20:21] neg_lo:[0,1] neg_hi:[0,1]
	v_pk_add_f32 v[50:51], v[36:37], v[16:17] neg_lo:[0,1] neg_hi:[0,1]
	v_fmac_f32_e32 v9, -0.5, v53
	v_pk_add_f32 v[42:43], v[12:13], v[40:41] op_sel:[0,1] op_sel_hi:[1,0]
	v_pk_mul_f32 v[46:47], v[44:45], s[4:5] op_sel_hi:[1,0]
	v_pk_add_f32 v[48:49], v[48:49], v[50:51]
	s_mov_b32 s4, s5
	v_pk_add_f32 v[20:21], v[20:21], v[28:29] neg_lo:[0,1] neg_hi:[0,1]
	v_fmamk_f32 v10, v44, 0xbf737871, v9
	v_pk_add_f32 v[16:17], v[16:17], v[36:37] neg_lo:[0,1] neg_hi:[0,1]
	v_fmac_f32_e32 v9, 0x3f737871, v44
	v_pk_add_f32 v[12:13], v[12:13], v[40:41] op_sel:[0,1] op_sel_hi:[1,0] neg_lo:[0,1] neg_hi:[0,1]
	v_fmac_f32_e32 v6, -0.5, v52
	v_pk_add_f32 v[42:43], v[46:47], v[42:43] op_sel:[1,0] op_sel_hi:[0,1]
	v_pk_mul_f32 v[50:51], v[48:49], s[4:5] op_sel_hi:[1,0]
	v_pk_add_f32 v[16:17], v[20:21], v[16:17]
	v_fmac_f32_e32 v9, 0xbf167918, v38
	v_pk_add_f32 v[12:13], v[12:13], v[46:47] op_sel:[0,1] op_sel_hi:[1,0] neg_lo:[0,1] neg_hi:[0,1]
	v_fmamk_f32 v25, v45, 0x3f737871, v6
	v_fmac_f32_e32 v6, 0xbf737871, v45
	v_add_f32_e32 v8, v51, v43
	v_fmac_f32_e32 v9, 0x3e9e377a, v17
	v_mov_b32_e32 v43, v13
	v_fmac_f32_e32 v6, 0x3f167918, v39
	v_add_f32_e32 v23, v50, v12
	v_pk_fma_f32 v[28:29], v[48:49], s[4:5], v[42:43] op_sel_hi:[1,0,1]
	v_fmac_f32_e32 v6, 0x3e9e377a, v16
	s_mov_b32 s5, 0x3f4f1bbd
	v_mul_f32_e32 v12, 0x3e9e377a, v9
	s_mov_b32 s4, s3
	v_fmac_f32_e32 v25, 0xbf167918, v39
	v_mul_f32_e32 v7, 0x3f167918, v23
	v_fma_f32 v21, v6, s2, -v12
	v_pk_mul_f32 v[12:13], v[28:29], s[4:5]
	v_fmac_f32_e32 v10, 0x3f167918, v38
	v_fmac_f32_e32 v25, 0x3e9e377a, v16
	v_add_f32_e32 v15, v57, v19
	v_fmac_f32_e32 v7, 0x3f4f1bbd, v8
	v_sub_f32_e32 v12, v12, v13
	v_sub_f32_e32 v36, v57, v19
	v_mov_b32_e32 v19, 2
	v_fmac_f32_e32 v10, 0x3e9e377a, v17
	v_add_f32_e32 v16, v26, v7
	v_mul_f32_e32 v17, 0x3f737871, v25
	v_add_f32_e32 v13, v56, v12
	v_sub_f32_e32 v26, v26, v7
	v_sub_f32_e32 v7, v56, v12
	v_mul_u32_u24_e32 v12, 0xc8, v54
	v_lshlrev_b32_sdwa v19, v19, v55 dst_sel:DWORD dst_unused:UNUSED_PAD src0_sel:DWORD src1_sel:BYTE_0
	v_fmac_f32_e32 v17, 0x3e9e377a, v10
	v_add_f32_e32 v35, v14, v21
	v_add3_u32 v19, 0, v12, v19
	v_add_f32_e32 v20, v58, v17
	v_sub_f32_e32 v17, v58, v17
	v_sub_f32_e32 v14, v14, v21
	ds_write2_b32 v19, v15, v16 offset1:5
	ds_write2_b32 v19, v20, v35 offset0:10 offset1:15
	ds_write2_b32 v19, v13, v36 offset0:20 offset1:25
	;; [unrolled: 1-line block ×4, first 2 shown]
	v_add_u32_e32 v35, 0xe00, v1
	s_waitcnt lgkmcnt(0)
	s_barrier
	ds_read2_b32 v[14:15], v1 offset1:135
	ds_read2_b32 v[12:13], v30 offset0:14 offset1:194
	ds_read2_b32 v[20:21], v35 offset0:4 offset1:139
	;; [unrolled: 1-line block ×3, first 2 shown]
	ds_read_b32 v26, v1 offset:4680
	s_mov_b32 s7, 0xbf737871
	s_mov_b32 s6, 0xbf167918
	v_cmp_gt_u32_e64 s[2:3], 45, v0
                                        ; implicit-def: $vgpr37
                                        ; implicit-def: $vgpr38
	s_and_saveexec_b64 s[4:5], s[2:3]
	s_cbranch_execz .LBB0_13
; %bb.12:
	ds_read_b32 v7, v1 offset:1620
	ds_read_b32 v38, v1 offset:3420
	;; [unrolled: 1-line block ×3, first 2 shown]
.LBB0_13:
	s_or_b64 exec, exec, s[4:5]
	v_add_f32_e32 v39, v27, v11
	v_fma_f32 v39, -0.5, v39, v4
	v_sub_f32_e32 v22, v22, v34
	v_fmamk_f32 v34, v22, 0xbf737871, v39
	v_sub_f32_e32 v24, v24, v33
	v_sub_f32_e32 v33, v32, v27
	;; [unrolled: 1-line block ×3, first 2 shown]
	v_fmac_f32_e32 v39, 0x3f737871, v22
	v_add_f32_e32 v36, v4, v32
	v_fmac_f32_e32 v34, 0xbf167918, v24
	v_add_f32_e32 v33, v33, v40
	;; [unrolled: 2-line block ×3, first 2 shown]
	v_fmac_f32_e32 v34, 0x3e9e377a, v33
	v_fmac_f32_e32 v39, 0x3e9e377a, v33
	v_add_f32_e32 v33, v32, v5
	v_add_f32_e32 v36, v36, v11
	v_fmac_f32_e32 v4, -0.5, v33
	v_add_f32_e32 v36, v36, v5
	v_fmamk_f32 v33, v24, 0x3f737871, v4
	v_sub_f32_e32 v27, v27, v32
	v_sub_f32_e32 v5, v11, v5
	v_fmac_f32_e32 v4, 0xbf737871, v24
	v_mul_f32_e32 v8, 0xbf167918, v8
	v_fmac_f32_e32 v33, 0xbf167918, v22
	v_add_f32_e32 v5, v27, v5
	v_fmac_f32_e32 v4, 0x3f167918, v22
	v_fmac_f32_e32 v8, 0x3f4f1bbd, v23
	v_mul_f32_e32 v10, 0xbf737871, v10
	v_mul_f32_e32 v6, 0x3e9e377a, v6
	;; [unrolled: 1-line block ×3, first 2 shown]
	v_fmac_f32_e32 v33, 0x3e9e377a, v5
	v_fmac_f32_e32 v4, 0x3e9e377a, v5
	;; [unrolled: 1-line block ×3, first 2 shown]
	v_fma_f32 v6, v9, s7, -v6
	v_fma_f32 v23, v29, s6, -v23
	v_add_f32_e32 v5, v36, v18
	v_add_f32_e32 v11, v34, v8
	;; [unrolled: 1-line block ×5, first 2 shown]
	v_sub_f32_e32 v18, v36, v18
	v_sub_f32_e32 v25, v34, v8
	;; [unrolled: 1-line block ×5, first 2 shown]
	s_waitcnt lgkmcnt(0)
	s_barrier
	ds_write2_b32 v19, v5, v11 offset1:5
	ds_write2_b32 v19, v22, v9 offset0:10 offset1:15
	ds_write2_b32 v19, v24, v18 offset0:20 offset1:25
	;; [unrolled: 1-line block ×4, first 2 shown]
	s_waitcnt lgkmcnt(0)
	s_barrier
	ds_read2_b32 v[18:19], v1 offset1:135
	ds_read2_b32 v[10:11], v30 offset0:14 offset1:194
	ds_read2_b32 v[24:25], v35 offset0:4 offset1:139
	;; [unrolled: 1-line block ×3, first 2 shown]
	ds_read_b32 v28, v1 offset:4680
                                        ; implicit-def: $vgpr29
                                        ; implicit-def: $vgpr30
	s_and_saveexec_b64 s[4:5], s[2:3]
	s_cbranch_execz .LBB0_15
; %bb.14:
	ds_read_b32 v8, v1 offset:1620
	ds_read_b32 v30, v1 offset:3420
	ds_read_b32 v29, v1 offset:5220
.LBB0_15:
	s_or_b64 exec, exec, s[4:5]
	v_add_u32_e32 v35, 0x87, v0
	v_mov_b32_e32 v6, 41
	v_mul_lo_u16_sdwa v6, v0, v6 dst_sel:DWORD dst_unused:UNUSED_PAD src0_sel:BYTE_0 src1_sel:DWORD
	v_lshrrev_b16_e32 v9, 1, v35
	v_lshrrev_b16_e32 v60, 11, v6
	v_mul_u32_u24_e32 v9, 0x147b, v9
	v_mul_lo_u16_e32 v6, 50, v60
	v_lshrrev_b32_e32 v62, 17, v9
	v_sub_u16_e32 v61, v0, v6
	v_mov_b32_e32 v6, 4
	v_mul_lo_u16_e32 v9, 50, v62
	v_add_u32_e32 v36, 0x10e, v0
	v_lshlrev_b32_sdwa v6, v6, v61 dst_sel:DWORD dst_unused:UNUSED_PAD src0_sel:DWORD src1_sel:BYTE_0
	v_sub_u16_e32 v63, v35, v9
	global_load_dwordx4 v[44:47], v6, s[8:9] offset:360
	v_lshlrev_b32_e32 v6, 4, v63
	v_lshrrev_b16_e32 v32, 1, v36
	global_load_dwordx4 v[48:51], v6, s[8:9] offset:360
	v_mul_u32_u24_e32 v6, 0x147b, v32
	v_lshrrev_b32_e32 v64, 17, v6
	v_add_u32_e32 v34, 0x195, v0
	v_mul_lo_u16_e32 v6, 50, v64
	v_sub_u16_e32 v65, v36, v6
	v_lshrrev_b16_e32 v33, 1, v34
	v_lshlrev_b32_e32 v6, 4, v65
	v_mul_u32_u24_e32 v9, 0x147b, v33
	global_load_dwordx4 v[52:55], v6, s[8:9] offset:360
	v_lshrrev_b32_e32 v6, 17, v9
	v_mul_lo_u16_e32 v6, 50, v6
	v_sub_u16_e32 v27, v34, v6
	v_lshlrev_b32_e32 v6, 4, v27
	global_load_dwordx4 v[56:59], v6, s[8:9] offset:360
	v_mov_b32_e32 v6, 0x3f5db3d7
	s_waitcnt lgkmcnt(0)
	s_barrier
	s_waitcnt vmcnt(3)
	v_mul_f32_e32 v9, v11, v45
	v_mul_f32_e32 v39, v13, v45
	;; [unrolled: 1-line block ×4, first 2 shown]
	v_fma_f32 v41, v13, v44, -v9
	v_fmac_f32_e32 v39, v11, v44
	v_fma_f32 v44, v20, v46, -v22
	s_waitcnt vmcnt(2)
	v_mul_f32_e32 v20, v25, v51
	v_mul_f32_e32 v11, v4, v49
	;; [unrolled: 1-line block ×3, first 2 shown]
	v_fma_f32 v45, v21, v50, -v20
	v_fmac_f32_e32 v42, v24, v46
	s_waitcnt vmcnt(1)
	v_mul_f32_e32 v9, v17, v53
	v_mul_f32_e32 v43, v21, v51
	;; [unrolled: 1-line block ×4, first 2 shown]
	v_fma_f32 v47, v16, v48, -v11
	s_waitcnt vmcnt(0)
	v_mul_f32_e32 v22, v38, v57
	v_mul_f32_e32 v20, v37, v59
	;; [unrolled: 1-line block ×4, first 2 shown]
	v_fmac_f32_e32 v40, v4, v48
	v_fmac_f32_e32 v9, v5, v52
	;; [unrolled: 1-line block ×4, first 2 shown]
	v_add_f32_e32 v4, v14, v41
	v_add_f32_e32 v5, v41, v44
	v_fmac_f32_e32 v43, v25, v50
	v_mul_f32_e32 v25, v29, v59
	v_fma_f32 v38, v17, v52, -v24
	v_fma_f32 v46, v26, v54, -v31
	v_sub_f32_e32 v11, v39, v42
	v_add_f32_e32 v24, v4, v44
	v_fma_f32 v14, -0.5, v5, v14
	v_add_f32_e32 v4, v15, v47
	v_add_f32_e32 v5, v47, v45
	v_pk_add_f32 v[30:31], v[22:23], v[20:21] neg_lo:[0,1] neg_hi:[0,1]
	v_fma_f32 v29, v37, v58, -v25
	v_fmamk_f32 v23, v11, 0x3f5db3d7, v14
	v_fmac_f32_e32 v14, 0xbf5db3d7, v11
	v_add_f32_e32 v11, v4, v45
	v_fmac_f32_e32 v15, -0.5, v5
	v_pk_add_f32 v[4:5], v[6:7], v[30:31]
	v_add_f32_e32 v16, v12, v38
	v_add_f32_e32 v17, v38, v46
	;; [unrolled: 1-line block ×3, first 2 shown]
	v_mul_f32_e32 v13, v26, v55
	v_add_f32_e32 v48, v16, v46
	v_fmac_f32_e32 v12, -0.5, v17
	v_pk_mul_f32 v[16:17], v[6:7], v[30:31]
	v_fmac_f32_e32 v7, -0.5, v4
	v_fmac_f32_e32 v13, v28, v54
	v_mov_b32_e32 v17, v5
	v_mov_b32_e32 v28, v7
	;; [unrolled: 1-line block ×3, first 2 shown]
	v_pk_add_f32 v[4:5], v[16:17], v[28:29]
	v_mul_u32_u24_e32 v17, 0x258, v60
	v_lshlrev_b32_sdwa v21, v21, v61 dst_sel:DWORD dst_unused:UNUSED_PAD src0_sel:DWORD src1_sel:BYTE_0
	v_add3_u32 v21, 0, v17, v21
	v_sub_f32_e32 v25, v40, v43
	ds_write2_b32 v21, v24, v23 offset1:50
	ds_write_b32 v21, v14 offset:400
	v_mul_u32_u24_e32 v14, 0x258, v62
	v_lshlrev_b32_e32 v17, 2, v63
	v_fmamk_f32 v6, v25, 0x3f5db3d7, v15
	v_add3_u32 v28, 0, v14, v17
	v_sub_f32_e32 v26, v9, v13
	v_fmac_f32_e32 v15, 0xbf5db3d7, v25
	ds_write2_b32 v28, v11, v6 offset1:50
	ds_write_b32 v28, v15 offset:400
	v_mul_u32_u24_e32 v6, 0x258, v64
	v_lshlrev_b32_e32 v11, 2, v65
	v_fmamk_f32 v25, v26, 0x3f5db3d7, v12
	v_add3_u32 v37, 0, v6, v11
	v_fmac_f32_e32 v12, 0xbf5db3d7, v26
	ds_write2_b32 v37, v48, v25 offset1:50
	ds_write_b32 v37, v12 offset:400
                                        ; implicit-def: $vgpr6
	s_and_saveexec_b64 s[4:5], vcc
	s_xor_b64 s[4:5], exec, s[4:5]
; %bb.16:
	v_mov_b32_e32 v6, v5
; %bb.17:
	s_or_saveexec_b64 s[4:5], s[4:5]
	v_sub_f32_e32 v7, v7, v16
	v_lshl_add_u32 v30, v27, 2, 0
	s_xor_b64 exec, exec, s[4:5]
	s_cbranch_execz .LBB0_19
; %bb.18:
	v_add_u32_e32 v6, 0x1000, v30
	ds_write2_b32 v6, v5, v4 offset0:176 offset1:226
	ds_write_b32 v30, v7 offset:5200
	v_mov_b32_e32 v6, v5
.LBB0_19:
	s_or_b64 exec, exec, s[4:5]
	v_add_u32_e32 v5, 0x400, v1
	s_waitcnt lgkmcnt(0)
	s_barrier
	ds_read2_b32 v[14:15], v5 offset0:14 offset1:194
	v_add_u32_e32 v5, 0xe00, v1
	ds_read2_b32 v[26:27], v5 offset0:4 offset1:139
	v_add_u32_e32 v5, 0x800, v1
	ds_read2_b32 v[16:17], v1 offset1:135
	ds_read2_b32 v[24:25], v5 offset0:73 offset1:208
	ds_read_b32 v11, v1 offset:4680
	s_and_saveexec_b64 s[4:5], vcc
	s_xor_b64 s[4:5], exec, s[4:5]
; %bb.20:
	v_mov_b32_e32 v5, v6
; %bb.21:
	s_andn2_saveexec_b64 s[4:5], s[4:5]
	s_cbranch_execz .LBB0_23
; %bb.22:
	ds_read_b32 v5, v1 offset:1620
	ds_read_b32 v4, v1 offset:3420
	;; [unrolled: 1-line block ×3, first 2 shown]
	s_waitcnt lgkmcnt(2)
	v_mov_b32_e32 v6, v5
.LBB0_23:
	s_or_b64 exec, exec, s[4:5]
	v_add_f32_e32 v12, v18, v39
	v_add_f32_e32 v48, v12, v42
	;; [unrolled: 1-line block ×3, first 2 shown]
	v_fma_f32 v18, -0.5, v12, v18
	v_sub_f32_e32 v12, v41, v44
	v_fmamk_f32 v41, v12, 0xbf5db3d7, v18
	v_fmac_f32_e32 v18, 0x3f5db3d7, v12
	v_add_f32_e32 v12, v19, v40
	v_add_f32_e32 v42, v12, v43
	;; [unrolled: 1-line block ×3, first 2 shown]
	v_fmac_f32_e32 v19, -0.5, v12
	v_sub_f32_e32 v12, v47, v45
	v_fmamk_f32 v40, v12, 0xbf5db3d7, v19
	v_fmac_f32_e32 v19, 0x3f5db3d7, v12
	v_add_f32_e32 v12, v10, v9
	v_add_f32_e32 v9, v9, v13
	;; [unrolled: 1-line block ×3, first 2 shown]
	v_fmac_f32_e32 v10, -0.5, v9
	v_sub_f32_e32 v9, v38, v46
	v_sub_f32_e32 v12, v31, v29
	v_mov_b32_e32 v38, 0x3f5db3d7
	v_mov_b32_e32 v39, v8
	;; [unrolled: 1-line block ×3, first 2 shown]
	v_fmamk_f32 v44, v9, 0xbf5db3d7, v10
	v_fmac_f32_e32 v10, 0x3f5db3d7, v9
	v_add_f32_e32 v9, v22, v20
	v_pk_mul_f32 v[22:23], v[38:39], v[12:13]
	v_pk_add_f32 v[12:13], v[38:39], v[12:13]
	v_fmac_f32_e32 v8, -0.5, v9
	v_mov_b32_e32 v23, v13
	v_mov_b32_e32 v9, v20
	v_pk_add_f32 v[12:13], v[22:23], v[8:9]
	s_waitcnt lgkmcnt(0)
	s_barrier
	ds_write2_b32 v21, v48, v41 offset1:50
	ds_write_b32 v21, v18 offset:400
	ds_write2_b32 v28, v42, v40 offset1:50
	ds_write_b32 v28, v19 offset:400
	;; [unrolled: 2-line block ×3, first 2 shown]
                                        ; implicit-def: $vgpr10
	s_and_saveexec_b64 s[4:5], vcc
	s_xor_b64 s[4:5], exec, s[4:5]
; %bb.24:
	v_mov_b32_e32 v10, v13
                                        ; implicit-def: $vgpr30
; %bb.25:
	s_or_saveexec_b64 s[4:5], s[4:5]
	v_sub_f32_e32 v37, v8, v22
	s_xor_b64 exec, exec, s[4:5]
	s_cbranch_execz .LBB0_27
; %bb.26:
	v_add_u32_e32 v8, 0x1000, v30
	v_mov_b32_e32 v10, v13
	ds_write2_b32 v8, v13, v37 offset0:176 offset1:226
	ds_write_b32 v30, v12 offset:5200
.LBB0_27:
	s_or_b64 exec, exec, s[4:5]
	v_add_u32_e32 v8, 0x400, v1
	s_waitcnt lgkmcnt(0)
	s_barrier
	ds_read2_b32 v[22:23], v8 offset0:14 offset1:194
	v_add_u32_e32 v8, 0xe00, v1
	ds_read2_b32 v[28:29], v8 offset0:4 offset1:139
	v_add_u32_e32 v8, 0x800, v1
	ds_read2_b32 v[20:21], v1 offset1:135
	ds_read2_b32 v[18:19], v8 offset0:73 offset1:208
	ds_read_b32 v38, v1 offset:4680
	s_and_saveexec_b64 s[4:5], vcc
	s_xor_b64 s[4:5], exec, s[4:5]
; %bb.28:
	v_mov_b32_e32 v13, v10
; %bb.29:
	s_andn2_saveexec_b64 s[4:5], s[4:5]
	s_cbranch_execz .LBB0_31
; %bb.30:
	ds_read_b32 v13, v1 offset:1620
	ds_read_b32 v37, v1 offset:3420
	;; [unrolled: 1-line block ×3, first 2 shown]
	s_waitcnt lgkmcnt(2)
	v_mov_b32_e32 v10, v13
.LBB0_31:
	s_or_b64 exec, exec, s[4:5]
	v_lshlrev_b32_e32 v30, 1, v0
	v_mov_b32_e32 v31, 0
	v_lshl_add_u64 v[8:9], v[30:31], 3, s[8:9]
	v_add_u32_e32 v30, -15, v0
	v_cmp_gt_u32_e64 s[4:5], 15, v0
	global_load_dwordx4 v[44:47], v[8:9], off offset:1160
	v_mov_b32_e32 v62, 0x3f5db3d7
	v_cndmask_b32_e64 v64, v30, v35, s[4:5]
	v_lshlrev_b32_e32 v30, 1, v64
	v_lshl_add_u64 v[30:31], v[30:31], 3, s[8:9]
	global_load_dwordx4 v[50:53], v[30:31], off offset:1160
	v_mul_u32_u24_e32 v30, 0xda75, v32
	v_mul_u32_u24_e32 v31, 0xda75, v33
	v_lshrrev_b32_e32 v65, 22, v30
	v_lshrrev_b32_e32 v30, 22, v31
	v_mul_lo_u16_e32 v31, 0x96, v65
	v_mul_lo_u16_e32 v30, 0x96, v30
	v_sub_u16_e32 v66, v36, v31
	v_sub_u16_e32 v49, v34, v30
	v_lshlrev_b32_e32 v31, 4, v66
	v_lshlrev_b32_e32 v30, 4, v49
	global_load_dwordx4 v[54:57], v31, s[8:9] offset:1160
	global_load_dwordx4 v[58:61], v30, s[8:9] offset:1160
	v_mov_b32_e32 v63, v5
	s_waitcnt lgkmcnt(0)
	s_barrier
	v_mov_b32_e32 v67, 0x708
	v_cmp_lt_u32_e64 s[4:5], 14, v0
	s_waitcnt vmcnt(3)
	v_mul_f32_e32 v30, v23, v45
	v_mul_f32_e32 v31, v28, v47
	;; [unrolled: 1-line block ×4, first 2 shown]
	v_fma_f32 v40, v15, v44, -v30
	v_fma_f32 v45, v26, v46, -v31
	v_fmac_f32_e32 v42, v28, v46
	s_waitcnt vmcnt(2)
	v_mul_f32_e32 v15, v18, v51
	v_mul_f32_e32 v26, v29, v53
	;; [unrolled: 1-line block ×3, first 2 shown]
	v_fmac_f32_e32 v39, v23, v44
	v_mul_f32_e32 v23, v24, v51
	v_add_f32_e32 v32, v16, v40
	v_fma_f32 v41, v27, v52, -v26
	v_add_f32_e32 v26, v40, v45
	v_fma_f32 v47, v24, v50, -v15
	v_fmac_f32_e32 v43, v29, v52
	s_waitcnt vmcnt(0)
	v_mul_f32_e32 v30, v4, v59
	v_mul_f32_e32 v28, v7, v61
	;; [unrolled: 1-line block ×6, first 2 shown]
	v_fmac_f32_e32 v30, v37, v58
	v_fmac_f32_e32 v28, v12, v60
	v_sub_f32_e32 v27, v39, v42
	v_fmac_f32_e32 v23, v18, v50
	v_mul_f32_e32 v18, v38, v57
	v_fma_f32 v46, v25, v54, -v15
	v_fmac_f32_e32 v44, v19, v54
	v_mul_f32_e32 v15, v12, v61
	v_add_f32_e32 v19, v32, v45
	v_fma_f32 v16, -0.5, v26, v16
	v_pk_add_f32 v[32:33], v[30:31], v[28:29] neg_lo:[0,1] neg_hi:[0,1]
	v_mul_f32_e32 v48, v11, v57
	v_fma_f32 v11, v11, v56, -v18
	v_fmamk_f32 v18, v27, 0x3f5db3d7, v16
	v_fma_f32 v7, v7, v60, -v15
	v_pk_add_f32 v[4:5], v[4:5], v[32:33]
	v_fmac_f32_e32 v16, 0xbf5db3d7, v27
	v_add_f32_e32 v25, v47, v41
	ds_write2_b32 v1, v19, v18 offset1:150
	ds_write_b32 v1, v16 offset:1200
	v_pk_mul_f32 v[18:19], v[62:63], v[32:33]
	v_add_f32_e32 v4, v33, v7
	v_add_f32_e32 v24, v17, v47
	v_sub_f32_e32 v26, v23, v43
	v_fmac_f32_e32 v17, -0.5, v25
	v_mov_b32_e32 v19, v5
	v_fmac_f32_e32 v6, -0.5, v4
	v_fmamk_f32 v16, v26, 0x3f5db3d7, v17
	v_fmac_f32_e32 v17, 0xbf5db3d7, v26
	v_pk_add_f32 v[4:5], v[18:19], v[6:7]
	v_cndmask_b32_e64 v19, 0, v67, s[4:5]
	v_lshlrev_b32_e32 v26, 2, v64
	v_fmac_f32_e32 v48, v38, v56
	v_add_f32_e32 v15, v24, v41
	v_add_f32_e32 v25, v46, v11
	v_add3_u32 v29, 0, v19, v26
	v_add_f32_e32 v24, v14, v46
	v_sub_f32_e32 v27, v44, v48
	v_fmac_f32_e32 v14, -0.5, v25
	ds_write2_b32 v29, v15, v16 offset1:150
	ds_write_b32 v29, v17 offset:1200
	v_mul_u32_u24_e32 v15, 0x708, v65
	v_lshlrev_b32_e32 v16, 2, v66
	v_add_f32_e32 v24, v24, v11
	v_fmamk_f32 v25, v27, 0x3f5db3d7, v14
	v_add3_u32 v32, 0, v15, v16
	v_fmac_f32_e32 v14, 0xbf5db3d7, v27
	ds_write2_b32 v32, v24, v25 offset1:150
	ds_write_b32 v32, v14 offset:1200
	s_and_saveexec_b64 s[4:5], vcc
	s_xor_b64 s[4:5], exec, s[4:5]
	s_or_saveexec_b64 s[4:5], s[4:5]
	v_sub_f32_e32 v6, v6, v18
	v_lshl_add_u32 v17, v49, 2, 0
	s_xor_b64 exec, exec, s[4:5]
	s_cbranch_execz .LBB0_33
; %bb.32:
	v_add_u32_e32 v14, 0xe00, v17
	ds_write2_b32 v14, v5, v4 offset0:4 offset1:154
	ds_write_b32 v17, v6 offset:4800
.LBB0_33:
	s_or_b64 exec, exec, s[4:5]
	v_add_u32_e32 v16, 0xe00, v1
	s_waitcnt lgkmcnt(0)
	s_barrier
	v_add_u32_e32 v14, 0x400, v1
	ds_read2_b32 v[24:25], v16 offset0:4 offset1:139
	v_add_u32_e32 v16, 0x800, v1
	ds_read2_b32 v[26:27], v1 offset1:135
	ds_read2_b32 v[14:15], v14 offset0:14 offset1:194
	ds_read2_b32 v[18:19], v16 offset0:73 offset1:208
	ds_read_b32 v16, v1 offset:4680
	s_and_saveexec_b64 s[4:5], vcc
	s_xor_b64 s[4:5], exec, s[4:5]
	s_andn2_saveexec_b64 s[4:5], s[4:5]
	s_cbranch_execz .LBB0_35
; %bb.34:
	ds_read_b32 v5, v1 offset:1620
	ds_read_b32 v4, v1 offset:3420
	;; [unrolled: 1-line block ×3, first 2 shown]
.LBB0_35:
	s_or_b64 exec, exec, s[4:5]
	v_add_f32_e32 v31, v20, v39
	v_add_f32_e32 v37, v31, v42
	;; [unrolled: 1-line block ×3, first 2 shown]
	v_fma_f32 v20, -0.5, v31, v20
	v_sub_f32_e32 v31, v40, v45
	v_fmamk_f32 v42, v31, 0xbf5db3d7, v20
	v_fmac_f32_e32 v20, 0x3f5db3d7, v31
	v_add_f32_e32 v31, v21, v23
	v_add_f32_e32 v23, v23, v43
	;; [unrolled: 1-line block ×3, first 2 shown]
	v_fmac_f32_e32 v21, -0.5, v23
	v_sub_f32_e32 v23, v47, v41
	v_add_f32_e32 v31, v44, v48
	v_fmamk_f32 v43, v23, 0xbf5db3d7, v21
	v_fmac_f32_e32 v21, 0x3f5db3d7, v23
	v_add_f32_e32 v23, v22, v44
	v_fmac_f32_e32 v22, -0.5, v31
	v_sub_f32_e32 v11, v46, v11
	v_sub_f32_e32 v38, v33, v7
	v_mov_b32_e32 v40, 0x3f5db3d7
	v_mov_b32_e32 v41, v13
	;; [unrolled: 1-line block ×3, first 2 shown]
	v_fmamk_f32 v44, v11, 0xbf5db3d7, v22
	v_fmac_f32_e32 v22, 0x3f5db3d7, v11
	v_add_f32_e32 v11, v30, v28
	v_pk_mul_f32 v[30:31], v[40:41], v[38:39]
	v_pk_add_f32 v[12:13], v[12:13], v[38:39]
	v_fmac_f32_e32 v10, -0.5, v11
	v_mov_b32_e32 v31, v13
	v_mov_b32_e32 v11, v28
	v_pk_add_f32 v[12:13], v[30:31], v[10:11]
	v_add_f32_e32 v23, v23, v48
	s_waitcnt lgkmcnt(0)
	s_barrier
	ds_write2_b32 v1, v37, v42 offset1:150
	ds_write_b32 v1, v20 offset:1200
	ds_write2_b32 v29, v45, v43 offset1:150
	ds_write_b32 v29, v21 offset:1200
	;; [unrolled: 2-line block ×3, first 2 shown]
	s_and_saveexec_b64 s[4:5], vcc
	s_xor_b64 s[4:5], exec, s[4:5]
; %bb.36:
                                        ; implicit-def: $vgpr17
; %bb.37:
	s_or_saveexec_b64 s[4:5], s[4:5]
	v_sub_f32_e32 v10, v10, v30
	s_xor_b64 exec, exec, s[4:5]
	s_cbranch_execz .LBB0_39
; %bb.38:
	v_add_u32_e32 v7, 0xe00, v17
	ds_write2_b32 v7, v13, v10 offset0:4 offset1:154
	ds_write_b32 v17, v12 offset:4800
.LBB0_39:
	s_or_b64 exec, exec, s[4:5]
	v_add_u32_e32 v7, 0x400, v1
	s_waitcnt lgkmcnt(0)
	s_barrier
	ds_read2_b32 v[20:21], v7 offset0:14 offset1:194
	v_add_u32_e32 v7, 0xe00, v1
	ds_read2_b32 v[32:33], v7 offset0:4 offset1:139
	v_add_u32_e32 v7, 0x800, v1
	ds_read2_b32 v[28:29], v1 offset1:135
	ds_read2_b32 v[30:31], v7 offset0:73 offset1:208
	ds_read_b32 v22, v1 offset:4680
	s_and_saveexec_b64 s[4:5], vcc
	s_xor_b64 s[4:5], exec, s[4:5]
	s_cbranch_execnz .LBB0_43
; %bb.40:
	s_andn2_saveexec_b64 s[4:5], s[4:5]
	s_cbranch_execnz .LBB0_44
.LBB0_41:
	s_or_b64 exec, exec, s[4:5]
	s_and_saveexec_b64 s[4:5], s[0:1]
	s_cbranch_execnz .LBB0_45
.LBB0_42:
	s_endpgm
.LBB0_43:
                                        ; implicit-def: $vgpr1
	s_andn2_saveexec_b64 s[4:5], s[4:5]
	s_cbranch_execz .LBB0_41
.LBB0_44:
	ds_read_b32 v13, v1 offset:1620
	ds_read_b32 v10, v1 offset:3420
	;; [unrolled: 1-line block ×3, first 2 shown]
	s_or_b64 exec, exec, s[4:5]
	s_and_saveexec_b64 s[4:5], s[0:1]
	s_cbranch_execz .LBB0_42
.LBB0_45:
	global_load_dwordx4 v[38:41], v[8:9], off offset:3560
	v_lshlrev_b32_e32 v8, 1, v36
	v_mov_b32_e32 v9, 0
	v_lshl_add_u64 v[42:43], v[8:9], 3, s[8:9]
	v_lshlrev_b32_e32 v8, 1, v35
	v_lshl_add_u64 v[46:47], v[8:9], 3, s[8:9]
	global_load_dwordx4 v[42:45], v[42:43], off offset:3560
	s_waitcnt lgkmcnt(4)
	v_mov_b32_e32 v50, v21
	global_load_dwordx4 v[46:49], v[46:47], off offset:3560
	v_mov_b32_e32 v52, v15
	v_mov_b32_e32 v54, v15
	v_mov_b32_e32 v56, v26
	s_waitcnt lgkmcnt(3)
	v_mov_b32_e32 v26, v33
	v_mov_b32_e32 v58, v25
	v_mov_b32_e32 v60, v25
	s_waitcnt lgkmcnt(2)
	v_mov_b32_e32 v57, v28
	s_mov_b32 s0, 0x3f5db3d7
	s_movk_i32 s1, 0x1000
	s_mov_b32 s10, 0x91a2b3c5
	v_mov_b32_e32 v28, v27
	s_waitcnt lgkmcnt(1)
	v_mov_b32_e32 v62, v31
	v_mov_b32_e32 v1, v9
	v_mul_hi_u32 v7, v35, s10
	v_lshl_add_u64 v[2:3], v[0:1], 3, v[2:3]
	v_mul_hi_u32 v8, v36, s10
	v_lshrrev_b32_e32 v1, 8, v7
	v_lshrrev_b32_e32 v7, 8, v8
	v_add_co_u32_e32 v36, vcc, s1, v2
	v_mul_u32_u24_e32 v8, 0x384, v1
	s_nop 0
	v_addc_co_u32_e32 v37, vcc, 0, v3, vcc
	v_lshl_add_u64 v[64:65], v[8:9], 3, v[2:3]
	v_mul_u32_u24_e32 v8, 0x384, v7
	v_lshl_add_u64 v[70:71], v[8:9], 3, v[2:3]
	v_mov_b32_e32 v8, v19
	v_mov_b32_e32 v15, v20
	s_mov_b64 s[4:5], 0x438
	s_movk_i32 s11, 0x2000
	v_lshl_add_u64 v[66:67], v[64:65], 0, s[4:5]
	v_add_co_u32_e32 v68, vcc, s11, v64
	s_mov_b64 s[6:7], 0x870
	s_nop 0
	v_addc_co_u32_e32 v69, vcc, 0, v65, vcc
	s_waitcnt vmcnt(2)
	v_pk_mul_f32 v[50:51], v[50:51], v[38:39] op_sel_hi:[0,1]
	v_pk_mul_f32 v[32:33], v[32:33], v[40:41] op_sel_hi:[0,1]
	v_pk_fma_f32 v[52:53], v[52:53], v[38:39], v[50:51] op_sel:[0,0,1] op_sel_hi:[1,1,0] neg_lo:[0,0,1] neg_hi:[0,0,1]
	v_pk_fma_f32 v[38:39], v[54:55], v[38:39], v[50:51] op_sel:[0,0,1] op_sel_hi:[0,1,0]
	v_pk_fma_f32 v[50:51], v[24:25], v[40:41], v[32:33] op_sel:[0,0,1] op_sel_hi:[1,1,0] neg_lo:[0,0,1] neg_hi:[0,0,1]
	v_pk_fma_f32 v[24:25], v[24:25], v[40:41], v[32:33] op_sel:[0,0,1] op_sel_hi:[0,1,0]
	v_mov_b32_e32 v53, v39
	v_mov_b32_e32 v51, v25
	v_pk_add_f32 v[38:39], v[56:57], v[52:53]
	v_pk_add_f32 v[40:41], v[52:53], v[50:51]
	v_pk_add_f32 v[52:53], v[52:53], v[50:51] neg_lo:[0,1] neg_hi:[0,1]
	s_waitcnt vmcnt(0)
	v_pk_mul_f32 v[30:31], v[30:31], v[46:47] op_sel_hi:[0,1]
	v_pk_mul_f32 v[26:27], v[26:27], v[48:49] op_sel_hi:[0,1]
	v_pk_add_f32 v[38:39], v[38:39], v[50:51]
	v_pk_fma_f32 v[40:41], v[40:41], 0.5, v[56:57] op_sel_hi:[1,0,1] neg_lo:[1,0,0] neg_hi:[1,0,0]
	v_pk_mul_f32 v[50:51], v[52:53], s[0:1] op_sel_hi:[1,0]
	v_pk_fma_f32 v[52:53], v[18:19], v[46:47], v[30:31] op_sel:[0,0,1] op_sel_hi:[1,1,0] neg_lo:[0,0,1] neg_hi:[0,0,1]
	v_pk_fma_f32 v[30:31], v[18:19], v[46:47], v[30:31] op_sel:[0,0,1] op_sel_hi:[0,1,0]
	v_pk_fma_f32 v[46:47], v[58:59], v[48:49], v[26:27] op_sel:[0,0,1] op_sel_hi:[1,1,0] neg_lo:[0,0,1] neg_hi:[0,0,1]
	v_pk_fma_f32 v[26:27], v[60:61], v[48:49], v[26:27] op_sel:[0,0,1] op_sel_hi:[0,1,0]
	global_store_dwordx2 v[2:3], v[38:39], off
	v_pk_add_f32 v[38:39], v[40:41], v[50:51] op_sel:[0,1] op_sel_hi:[1,0]
	v_pk_add_f32 v[40:41], v[40:41], v[50:51] op_sel:[0,1] op_sel_hi:[1,0] neg_lo:[0,1] neg_hi:[0,1]
	v_mov_b32_e32 v53, v31
	v_mov_b32_e32 v47, v27
	;; [unrolled: 1-line block ×5, first 2 shown]
	v_pk_add_f32 v[30:31], v[28:29], v[52:53]
	v_pk_add_f32 v[38:39], v[52:53], v[46:47]
	v_pk_add_f32 v[48:49], v[52:53], v[46:47] neg_lo:[0,1] neg_hi:[0,1]
	global_store_dwordx2 v[2:3], v[26:27], off offset:3600
	global_store_dwordx2 v[36:37], v[40:41], off offset:3104
	v_pk_add_f32 v[26:27], v[30:31], v[46:47]
	v_pk_fma_f32 v[28:29], v[38:39], 0.5, v[28:29] op_sel_hi:[1,0,1] neg_lo:[1,0,0] neg_hi:[1,0,0]
	v_pk_mul_f32 v[30:31], v[48:49], s[0:1] op_sel_hi:[1,0]
	v_pk_mul_f32 v[24:25], v[62:63], v[42:43] op_sel_hi:[0,1]
	global_store_dwordx2 v[64:65], v[26:27], off offset:1080
	v_pk_add_f32 v[26:27], v[28:29], v[30:31] op_sel:[0,1] op_sel_hi:[1,0]
	v_pk_add_f32 v[28:29], v[28:29], v[30:31] op_sel:[0,1] op_sel_hi:[1,0] neg_lo:[0,1] neg_hi:[0,1]
	v_mov_b32_e32 v18, v19
	v_mov_b32_e32 v30, v26
	;; [unrolled: 1-line block ×4, first 2 shown]
	v_pk_fma_f32 v[26:27], v[8:9], v[42:43], v[24:25] op_sel:[0,0,1] op_sel_hi:[1,1,0] neg_lo:[0,0,1] neg_hi:[0,0,1]
	v_pk_fma_f32 v[18:19], v[18:19], v[42:43], v[24:25] op_sel:[0,0,1] op_sel_hi:[0,1,0]
	v_mov_b32_e32 v27, v19
	s_waitcnt lgkmcnt(0)
	v_pk_mul_f32 v[18:19], v[22:23], v[44:45] op_sel_hi:[0,1]
	v_pk_fma_f32 v[22:23], v[16:17], v[44:45], v[18:19] op_sel:[0,0,1] op_sel_hi:[1,1,0] neg_lo:[0,0,1] neg_hi:[0,0,1]
	v_pk_fma_f32 v[16:17], v[16:17], v[44:45], v[18:19] op_sel:[0,0,1] op_sel_hi:[0,1,0]
	v_mov_b32_e32 v23, v17
	v_pk_add_f32 v[16:17], v[14:15], v[26:27]
	global_store_dwordx2 v[66:67], v[30:31], off offset:3600
	global_store_dwordx2 v[68:69], v[28:29], off offset:88
	v_pk_add_f32 v[16:17], v[16:17], v[22:23]
	global_store_dwordx2 v[70:71], v[16:17], off offset:2160
	v_pk_add_f32 v[16:17], v[26:27], v[22:23]
	v_lshl_add_u64 v[32:33], v[70:71], 0, s[6:7]
	v_pk_fma_f32 v[14:15], v[16:17], 0.5, v[14:15] op_sel_hi:[1,0,1] neg_lo:[1,0,0] neg_hi:[1,0,0]
	v_pk_add_f32 v[16:17], v[26:27], v[22:23] neg_lo:[0,1] neg_hi:[0,1]
	s_nop 0
	v_pk_mul_f32 v[16:17], v[16:17], s[0:1] op_sel_hi:[1,0]
	s_nop 0
	v_pk_add_f32 v[18:19], v[14:15], v[16:17] op_sel:[0,1] op_sel_hi:[1,0]
	v_pk_add_f32 v[14:15], v[14:15], v[16:17] op_sel:[0,1] op_sel_hi:[1,0] neg_lo:[0,1] neg_hi:[0,1]
	v_mov_b32_e32 v16, v18
	v_mov_b32_e32 v17, v15
	global_store_dwordx2 v[32:33], v[16:17], off offset:3600
	v_add_co_u32_e32 v16, vcc, 0x2000, v70
	v_mov_b32_e32 v15, v19
	s_nop 0
	v_addc_co_u32_e32 v17, vcc, 0, v71, vcc
	global_store_dwordx2 v[16:17], v[14:15], off offset:1168
	s_and_b64 exec, exec, s[2:3]
	s_cbranch_execz .LBB0_42
; %bb.46:
	v_subrev_u32_e32 v0, 45, v0
	v_cndmask_b32_e64 v0, v0, v34, s[2:3]
	v_lshlrev_b32_e32 v8, 1, v0
	v_lshl_add_u64 v[0:1], v[8:9], 3, s[8:9]
	global_load_dwordx4 v[14:17], v[0:1], off offset:3560
	v_add_co_u32_e32 v0, vcc, 0x1000, v2
	s_waitcnt vmcnt(0)
	v_pk_mul_f32 v[10:11], v[10:11], v[14:15] op_sel_hi:[0,1]
	v_pk_mul_f32 v[18:19], v[12:13], v[16:17] op_sel_hi:[0,1]
	v_mov_b32_e32 v12, v5
	v_pk_fma_f32 v[20:21], v[4:5], v[14:15], v[10:11] op_sel:[0,0,1] op_sel_hi:[1,1,0] neg_lo:[0,0,1] neg_hi:[0,0,1]
	v_pk_fma_f32 v[4:5], v[4:5], v[14:15], v[10:11] op_sel:[0,0,1] op_sel_hi:[0,1,0]
	v_pk_fma_f32 v[10:11], v[6:7], v[16:17], v[18:19] op_sel:[0,0,1] op_sel_hi:[1,1,0] neg_lo:[0,0,1] neg_hi:[0,0,1]
	v_pk_fma_f32 v[6:7], v[6:7], v[16:17], v[18:19] op_sel:[0,0,1] op_sel_hi:[0,1,0]
	v_mov_b32_e32 v21, v5
	v_mov_b32_e32 v11, v7
	v_pk_add_f32 v[4:5], v[12:13], v[20:21]
	v_pk_add_f32 v[6:7], v[20:21], v[10:11]
	v_pk_add_f32 v[14:15], v[20:21], v[10:11] neg_lo:[0,1] neg_hi:[0,1]
	v_addc_co_u32_e32 v1, vcc, 0, v3, vcc
	v_pk_add_f32 v[4:5], v[4:5], v[10:11]
	v_pk_fma_f32 v[6:7], -0.5, v[6:7], v[12:13] op_sel_hi:[0,1,1]
	v_pk_mul_f32 v[10:11], v[14:15], s[0:1] op_sel_hi:[1,0]
	v_add_co_u32_e32 v8, vcc, 0x2000, v2
	v_pk_add_f32 v[12:13], v[6:7], v[10:11] op_sel:[0,1] op_sel_hi:[1,0]
	v_pk_add_f32 v[6:7], v[6:7], v[10:11] op_sel:[0,1] op_sel_hi:[1,0] neg_lo:[0,1] neg_hi:[0,1]
	v_addc_co_u32_e32 v9, vcc, 0, v3, vcc
	global_store_dwordx2 v[2:3], v[4:5], off offset:3240
	v_mov_b32_e32 v2, v12
	v_mov_b32_e32 v3, v7
	;; [unrolled: 1-line block ×3, first 2 shown]
	global_store_dwordx2 v[0:1], v[2:3], off offset:2744
	global_store_dwordx2 v[8:9], v[6:7], off offset:2248
	s_endpgm
	.section	.rodata,"a",@progbits
	.p2align	6, 0x0
	.amdhsa_kernel fft_rtc_fwd_len1350_factors_5_10_3_3_3_wgs_135_tpt_135_halfLds_sp_ip_CI_unitstride_sbrr_dirReg
		.amdhsa_group_segment_fixed_size 0
		.amdhsa_private_segment_fixed_size 0
		.amdhsa_kernarg_size 88
		.amdhsa_user_sgpr_count 2
		.amdhsa_user_sgpr_dispatch_ptr 0
		.amdhsa_user_sgpr_queue_ptr 0
		.amdhsa_user_sgpr_kernarg_segment_ptr 1
		.amdhsa_user_sgpr_dispatch_id 0
		.amdhsa_user_sgpr_kernarg_preload_length 0
		.amdhsa_user_sgpr_kernarg_preload_offset 0
		.amdhsa_user_sgpr_private_segment_size 0
		.amdhsa_uses_dynamic_stack 0
		.amdhsa_enable_private_segment 0
		.amdhsa_system_sgpr_workgroup_id_x 1
		.amdhsa_system_sgpr_workgroup_id_y 0
		.amdhsa_system_sgpr_workgroup_id_z 0
		.amdhsa_system_sgpr_workgroup_info 0
		.amdhsa_system_vgpr_workitem_id 0
		.amdhsa_next_free_vgpr 72
		.amdhsa_next_free_sgpr 22
		.amdhsa_accum_offset 72
		.amdhsa_reserve_vcc 1
		.amdhsa_float_round_mode_32 0
		.amdhsa_float_round_mode_16_64 0
		.amdhsa_float_denorm_mode_32 3
		.amdhsa_float_denorm_mode_16_64 3
		.amdhsa_dx10_clamp 1
		.amdhsa_ieee_mode 1
		.amdhsa_fp16_overflow 0
		.amdhsa_tg_split 0
		.amdhsa_exception_fp_ieee_invalid_op 0
		.amdhsa_exception_fp_denorm_src 0
		.amdhsa_exception_fp_ieee_div_zero 0
		.amdhsa_exception_fp_ieee_overflow 0
		.amdhsa_exception_fp_ieee_underflow 0
		.amdhsa_exception_fp_ieee_inexact 0
		.amdhsa_exception_int_div_zero 0
	.end_amdhsa_kernel
	.text
.Lfunc_end0:
	.size	fft_rtc_fwd_len1350_factors_5_10_3_3_3_wgs_135_tpt_135_halfLds_sp_ip_CI_unitstride_sbrr_dirReg, .Lfunc_end0-fft_rtc_fwd_len1350_factors_5_10_3_3_3_wgs_135_tpt_135_halfLds_sp_ip_CI_unitstride_sbrr_dirReg
                                        ; -- End function
	.section	.AMDGPU.csdata,"",@progbits
; Kernel info:
; codeLenInByte = 7660
; NumSgprs: 28
; NumVgprs: 72
; NumAgprs: 0
; TotalNumVgprs: 72
; ScratchSize: 0
; MemoryBound: 0
; FloatMode: 240
; IeeeMode: 1
; LDSByteSize: 0 bytes/workgroup (compile time only)
; SGPRBlocks: 3
; VGPRBlocks: 8
; NumSGPRsForWavesPerEU: 28
; NumVGPRsForWavesPerEU: 72
; AccumOffset: 72
; Occupancy: 7
; WaveLimiterHint : 1
; COMPUTE_PGM_RSRC2:SCRATCH_EN: 0
; COMPUTE_PGM_RSRC2:USER_SGPR: 2
; COMPUTE_PGM_RSRC2:TRAP_HANDLER: 0
; COMPUTE_PGM_RSRC2:TGID_X_EN: 1
; COMPUTE_PGM_RSRC2:TGID_Y_EN: 0
; COMPUTE_PGM_RSRC2:TGID_Z_EN: 0
; COMPUTE_PGM_RSRC2:TIDIG_COMP_CNT: 0
; COMPUTE_PGM_RSRC3_GFX90A:ACCUM_OFFSET: 17
; COMPUTE_PGM_RSRC3_GFX90A:TG_SPLIT: 0
	.text
	.p2alignl 6, 3212836864
	.fill 256, 4, 3212836864
	.type	__hip_cuid_3a25ab3da6d35b1c,@object ; @__hip_cuid_3a25ab3da6d35b1c
	.section	.bss,"aw",@nobits
	.globl	__hip_cuid_3a25ab3da6d35b1c
__hip_cuid_3a25ab3da6d35b1c:
	.byte	0                               ; 0x0
	.size	__hip_cuid_3a25ab3da6d35b1c, 1

	.ident	"AMD clang version 19.0.0git (https://github.com/RadeonOpenCompute/llvm-project roc-6.4.0 25133 c7fe45cf4b819c5991fe208aaa96edf142730f1d)"
	.section	".note.GNU-stack","",@progbits
	.addrsig
	.addrsig_sym __hip_cuid_3a25ab3da6d35b1c
	.amdgpu_metadata
---
amdhsa.kernels:
  - .agpr_count:     0
    .args:
      - .actual_access:  read_only
        .address_space:  global
        .offset:         0
        .size:           8
        .value_kind:     global_buffer
      - .offset:         8
        .size:           8
        .value_kind:     by_value
      - .actual_access:  read_only
        .address_space:  global
        .offset:         16
        .size:           8
        .value_kind:     global_buffer
      - .actual_access:  read_only
        .address_space:  global
        .offset:         24
        .size:           8
        .value_kind:     global_buffer
      - .offset:         32
        .size:           8
        .value_kind:     by_value
      - .actual_access:  read_only
        .address_space:  global
        .offset:         40
        .size:           8
        .value_kind:     global_buffer
      - .actual_access:  read_only
        .address_space:  global
        .offset:         48
        .size:           8
        .value_kind:     global_buffer
      - .offset:         56
        .size:           4
        .value_kind:     by_value
      - .actual_access:  read_only
        .address_space:  global
        .offset:         64
        .size:           8
        .value_kind:     global_buffer
      - .actual_access:  read_only
        .address_space:  global
        .offset:         72
        .size:           8
        .value_kind:     global_buffer
      - .address_space:  global
        .offset:         80
        .size:           8
        .value_kind:     global_buffer
    .group_segment_fixed_size: 0
    .kernarg_segment_align: 8
    .kernarg_segment_size: 88
    .language:       OpenCL C
    .language_version:
      - 2
      - 0
    .max_flat_workgroup_size: 135
    .name:           fft_rtc_fwd_len1350_factors_5_10_3_3_3_wgs_135_tpt_135_halfLds_sp_ip_CI_unitstride_sbrr_dirReg
    .private_segment_fixed_size: 0
    .sgpr_count:     28
    .sgpr_spill_count: 0
    .symbol:         fft_rtc_fwd_len1350_factors_5_10_3_3_3_wgs_135_tpt_135_halfLds_sp_ip_CI_unitstride_sbrr_dirReg.kd
    .uniform_work_group_size: 1
    .uses_dynamic_stack: false
    .vgpr_count:     72
    .vgpr_spill_count: 0
    .wavefront_size: 64
amdhsa.target:   amdgcn-amd-amdhsa--gfx950
amdhsa.version:
  - 1
  - 2
...

	.end_amdgpu_metadata
